;; amdgpu-corpus repo=ROCm/rocFFT kind=compiled arch=gfx1201 opt=O3
	.text
	.amdgcn_target "amdgcn-amd-amdhsa--gfx1201"
	.amdhsa_code_object_version 6
	.protected	fft_rtc_back_len243_factors_3_3_3_3_3_wgs_216_tpt_27_sp_op_CI_CI_sbrc_xy_z_unaligned ; -- Begin function fft_rtc_back_len243_factors_3_3_3_3_3_wgs_216_tpt_27_sp_op_CI_CI_sbrc_xy_z_unaligned
	.globl	fft_rtc_back_len243_factors_3_3_3_3_3_wgs_216_tpt_27_sp_op_CI_CI_sbrc_xy_z_unaligned
	.p2align	8
	.type	fft_rtc_back_len243_factors_3_3_3_3_3_wgs_216_tpt_27_sp_op_CI_CI_sbrc_xy_z_unaligned,@function
fft_rtc_back_len243_factors_3_3_3_3_3_wgs_216_tpt_27_sp_op_CI_CI_sbrc_xy_z_unaligned: ; @fft_rtc_back_len243_factors_3_3_3_3_3_wgs_216_tpt_27_sp_op_CI_CI_sbrc_xy_z_unaligned
; %bb.0:
	s_load_b128 s[4:7], s[0:1], 0x10
	s_mov_b32 s2, ttmp9
	s_mov_b64 s[28:29], 0
	s_wait_kmcnt 0x0
	s_load_b128 s[8:11], s[4:5], 0x8
	s_clause 0x1
	s_load_b128 s[16:19], s[6:7], 0x0
	s_load_b64 s[24:25], s[6:7], 0x10
	s_wait_kmcnt 0x0
	s_add_co_i32 s3, s10, -1
	s_delay_alu instid0(SALU_CYCLE_1) | instskip(NEXT) | instid1(SALU_CYCLE_1)
	s_lshr_b32 s3, s3, 3
	s_add_co_i32 s3, s3, 1
	s_delay_alu instid0(SALU_CYCLE_1) | instskip(NEXT) | instid1(SALU_CYCLE_1)
	s_mul_i32 s4, s3, s8
	s_cvt_f32_u32 s3, s4
	s_sub_co_i32 s5, 0, s4
	s_delay_alu instid0(SALU_CYCLE_2) | instskip(NEXT) | instid1(TRANS32_DEP_1)
	v_rcp_iflag_f32_e32 v1, s3
	v_readfirstlane_b32 s3, v1
	v_cvt_f32_u32_e32 v1, s8
	s_delay_alu instid0(VALU_DEP_2) | instskip(SKIP_1) | instid1(SALU_CYCLE_2)
	s_mul_f32 s3, s3, 0x4f7ffffe
	s_wait_alu 0xfffe
	s_cvt_u32_f32 s3, s3
	s_wait_alu 0xfffe
	s_delay_alu instid0(SALU_CYCLE_2) | instskip(NEXT) | instid1(SALU_CYCLE_1)
	s_mul_i32 s5, s5, s3
	s_mul_hi_u32 s5, s3, s5
	s_delay_alu instid0(SALU_CYCLE_1)
	s_add_co_i32 s3, s3, s5
	s_wait_alu 0xfffe
	s_mul_hi_u32 s3, ttmp9, s3
	s_wait_alu 0xfffe
	s_mul_i32 s5, s3, s4
	s_add_co_i32 s11, s3, 1
	s_sub_co_i32 s5, ttmp9, s5
	s_delay_alu instid0(SALU_CYCLE_1)
	s_sub_co_i32 s12, s5, s4
	s_cmp_ge_u32 s5, s4
	s_cselect_b32 s3, s11, s3
	s_cselect_b32 s5, s12, s5
	s_wait_alu 0xfffe
	s_add_co_i32 s11, s3, 1
	s_cmp_ge_u32 s5, s4
	s_cselect_b32 s20, s11, s3
	s_mov_b32 s3, 0
	s_mul_i32 s4, s20, s4
	s_wait_alu 0xfffe
	s_mov_b32 s5, s3
	s_sub_co_i32 s4, ttmp9, s4
	s_delay_alu instid0(SALU_CYCLE_1) | instskip(NEXT) | instid1(VALU_DEP_1)
	v_cmp_lt_u64_e64 s5, s[4:5], s[8:9]
	s_and_b32 vcc_lo, exec_lo, s5
	s_cbranch_vccnz .LBB0_2
; %bb.1:
	v_rcp_iflag_f32_e32 v2, v1
	s_sub_co_i32 s11, 0, s8
	s_delay_alu instid0(TRANS32_DEP_1) | instskip(NEXT) | instid1(VALU_DEP_1)
	v_mul_f32_e32 v2, 0x4f7ffffe, v2
	v_cvt_u32_f32_e32 v2, v2
	s_delay_alu instid0(VALU_DEP_1) | instskip(NEXT) | instid1(VALU_DEP_1)
	v_readfirstlane_b32 s5, v2
	s_mul_i32 s11, s11, s5
	s_delay_alu instid0(SALU_CYCLE_1) | instskip(NEXT) | instid1(SALU_CYCLE_1)
	s_mul_hi_u32 s11, s5, s11
	s_add_co_i32 s5, s5, s11
	s_wait_alu 0xfffe
	s_mul_hi_u32 s5, s4, s5
	s_wait_alu 0xfffe
	s_mul_i32 s11, s5, s8
	s_delay_alu instid0(SALU_CYCLE_1)
	s_sub_co_i32 s4, s4, s11
	s_add_co_i32 s11, s5, 1
	s_wait_alu 0xfffe
	s_sub_co_i32 s12, s4, s8
	s_cmp_ge_u32 s4, s8
	s_cselect_b32 s5, s11, s5
	s_cselect_b32 s4, s12, s4
	s_wait_alu 0xfffe
	s_add_co_i32 s11, s5, 1
	s_cmp_ge_u32 s4, s8
	s_cselect_b32 s28, s11, s5
.LBB0_2:
	s_load_b64 s[22:23], s[0:1], 0x20
	v_cmp_lt_u64_e64 s3, s[2:3], s[8:9]
	s_delay_alu instid0(VALU_DEP_1)
	s_and_b32 vcc_lo, exec_lo, s3
	s_cbranch_vccnz .LBB0_4
; %bb.3:
	v_rcp_iflag_f32_e32 v1, v1
	s_sub_co_i32 s4, 0, s8
	s_delay_alu instid0(TRANS32_DEP_1) | instskip(NEXT) | instid1(VALU_DEP_1)
	v_mul_f32_e32 v1, 0x4f7ffffe, v1
	v_cvt_u32_f32_e32 v1, v1
	s_delay_alu instid0(VALU_DEP_1) | instskip(SKIP_1) | instid1(VALU_DEP_1)
	v_readfirstlane_b32 s3, v1
	s_wait_alu 0xfffe
	s_mul_i32 s4, s4, s3
	s_wait_alu 0xfffe
	s_mul_hi_u32 s4, s3, s4
	s_wait_alu 0xfffe
	s_add_co_i32 s3, s3, s4
	s_wait_alu 0xfffe
	s_mul_hi_u32 s3, s2, s3
	s_wait_alu 0xfffe
	s_mul_i32 s3, s3, s8
	s_wait_alu 0xfffe
	s_sub_co_i32 s2, s2, s3
	s_wait_alu 0xfffe
	s_sub_co_i32 s3, s2, s8
	s_cmp_ge_u32 s2, s8
	s_wait_alu 0xfffe
	s_cselect_b32 s2, s3, s2
	s_wait_alu 0xfffe
	s_sub_co_i32 s3, s2, s8
	s_cmp_ge_u32 s2, s8
	s_wait_alu 0xfffe
	s_cselect_b32 s2, s3, s2
.LBB0_4:
	s_clause 0x1
	s_load_b128 s[12:15], s[0:1], 0x0
	s_load_b64 s[26:27], s[0:1], 0x58
	s_mov_b32 s21, 0
	v_lshl_add_u32 v3, v0, 3, 0
	s_mov_b32 s19, s21
	s_mov_b32 s3, -1
	s_wait_kmcnt 0x0
	s_lshl_b64 s[4:5], s[14:15], 3
	s_wait_alu 0xfffe
	s_add_nc_u64 s[6:7], s[6:7], s[4:5]
	s_add_nc_u64 s[8:9], s[22:23], s[4:5]
	s_load_b64 s[30:31], s[6:7], 0x0
	s_clause 0x2
	s_load_b128 s[4:7], s[22:23], 0x0
	s_load_b64 s[22:23], s[22:23], 0x10
	s_load_b64 s[14:15], s[8:9], 0x0
	s_lshl_b32 s8, s28, 3
	s_wait_kmcnt 0x0
	s_mul_i32 s7, s2, s18
	s_wait_alu 0xfffe
	s_mul_i32 s9, s8, s24
	s_add_co_i32 s11, s8, 8
	s_wait_alu 0xfffe
	s_add_co_i32 s18, s7, s9
	s_cmp_le_u32 s11, s10
	s_cselect_b32 s7, -1, 0
	s_delay_alu instid0(SALU_CYCLE_1) | instskip(SKIP_1) | instid1(SALU_CYCLE_1)
	s_and_b32 vcc_lo, exec_lo, s7
	s_mul_u64 s[28:29], s[30:31], s[20:21]
	s_add_nc_u64 s[18:19], s[28:29], s[18:19]
	s_cbranch_vccnz .LBB0_8
; %bb.5:
	v_dual_mov_b32 v2, 0 :: v_dual_mov_b32 v5, v3
	v_mov_b32_e32 v4, v0
	s_lshl_b64 s[28:29], s[18:19], 3
	s_mov_b32 s3, s21
	s_add_nc_u64 s[28:29], s[26:27], s[28:29]
.LBB0_6:                                ; =>This Inner Loop Header: Depth=1
	s_delay_alu instid0(VALU_DEP_1) | instskip(NEXT) | instid1(VALU_DEP_1)
	v_and_b32_e32 v1, 0xffff, v4
	v_mul_u32_u24_e32 v1, 0xdb3, v1
	s_delay_alu instid0(VALU_DEP_1) | instskip(NEXT) | instid1(VALU_DEP_1)
	v_lshrrev_b32_e32 v1, 16, v1
	v_sub_nc_u16 v6, v4, v1
	s_delay_alu instid0(VALU_DEP_1) | instskip(NEXT) | instid1(VALU_DEP_1)
	v_lshrrev_b16 v6, 1, v6
	v_add_nc_u16 v1, v6, v1
	s_delay_alu instid0(VALU_DEP_1) | instskip(NEXT) | instid1(VALU_DEP_1)
	v_lshrrev_b16 v9, 7, v1
	v_mul_lo_u16 v1, 0xf3, v9
	s_delay_alu instid0(VALU_DEP_1) | instskip(SKIP_1) | instid1(VALU_DEP_2)
	v_sub_nc_u16 v1, v4, v1
	v_add_nc_u32_e32 v4, 0xd8, v4
	v_and_b32_e32 v8, 0xffff, v1
	s_delay_alu instid0(VALU_DEP_1) | instskip(NEXT) | instid1(VALU_DEP_1)
	v_mad_co_u64_u32 v[6:7], null, s16, v8, 0
	v_mov_b32_e32 v1, v7
	s_delay_alu instid0(VALU_DEP_1) | instskip(SKIP_1) | instid1(VALU_DEP_1)
	v_mad_co_u64_u32 v[7:8], null, s17, v8, v[1:2]
	v_and_b32_e32 v1, 0xffff, v9
	v_mul_lo_u32 v1, s24, v1
	s_delay_alu instid0(VALU_DEP_3) | instskip(NEXT) | instid1(VALU_DEP_2)
	v_lshlrev_b64_e32 v[6:7], 3, v[6:7]
	v_lshlrev_b64_e32 v[8:9], 3, v[1:2]
	s_delay_alu instid0(VALU_DEP_2) | instskip(SKIP_1) | instid1(VALU_DEP_3)
	v_add_co_u32 v1, vcc_lo, s28, v6
	s_wait_alu 0xfffd
	v_add_co_ci_u32_e32 v7, vcc_lo, s29, v7, vcc_lo
	s_delay_alu instid0(VALU_DEP_2) | instskip(SKIP_1) | instid1(VALU_DEP_2)
	v_add_co_u32 v6, vcc_lo, v1, v8
	s_wait_alu 0xfffd
	v_add_co_ci_u32_e32 v7, vcc_lo, v7, v9, vcc_lo
	v_cmp_lt_u32_e32 vcc_lo, 0x797, v4
	global_load_b64 v[6:7], v[6:7], off
	s_wait_alu 0xfffe
	s_or_b32 s3, vcc_lo, s3
	s_wait_loadcnt 0x0
	ds_store_b64 v5, v[6:7]
	v_add_nc_u32_e32 v5, 0x6c0, v5
	s_wait_alu 0xfffe
	s_and_not1_b32 exec_lo, exec_lo, s3
	s_cbranch_execnz .LBB0_6
; %bb.7:
	s_or_b32 exec_lo, exec_lo, s3
	s_mov_b32 s3, 0
.LBB0_8:
	v_and_b32_e32 v1, 0xffff, v0
	s_wait_alu 0xfffe
	s_and_b32 vcc_lo, exec_lo, s3
	s_wait_alu 0xfffe
	s_cbranch_vccz .LBB0_10
; %bb.9:
	v_mul_u32_u24_e32 v2, 0x10e, v1
	v_dual_mov_b32 v5, 0 :: v_dual_add_nc_u32 v6, 0xd8, v0
	v_add_nc_u32_e32 v8, 0x1b0, v0
	v_add_nc_u32_e32 v14, 0x288, v0
	s_delay_alu instid0(VALU_DEP_4) | instskip(NEXT) | instid1(VALU_DEP_4)
	v_lshrrev_b32_e32 v2, 16, v2
	v_mul_u32_u24_e32 v4, 0x10e, v6
	s_lshl_b64 s[18:19], s[18:19], 3
	v_mul_u32_u24_e32 v9, 0x437, v8
	v_mul_u32_u24_e32 v10, 0x437, v14
	v_mul_lo_u16 v7, 0xf3, v2
	v_lshrrev_b32_e32 v15, 16, v4
	v_mul_lo_u32 v4, s24, v2
	v_lshrrev_b32_e32 v22, 18, v9
	v_lshrrev_b32_e32 v23, 18, v10
	v_sub_nc_u16 v7, v0, v7
	v_mul_lo_u16 v11, 0xf3, v15
	s_add_nc_u64 s[18:19], s[26:27], s[18:19]
	v_mul_lo_u16 v9, 0xf3, v22
	v_mul_lo_u16 v17, 0xf3, v23
	v_and_b32_e32 v12, 0xffff, v7
	v_sub_nc_u16 v2, v6, v11
	s_delay_alu instid0(VALU_DEP_4) | instskip(SKIP_1) | instid1(VALU_DEP_4)
	v_sub_nc_u16 v13, v8, v9
	v_lshlrev_b64_e32 v[8:9], 3, v[4:5]
	v_mad_co_u64_u32 v[6:7], null, s16, v12, 0
	s_delay_alu instid0(VALU_DEP_4) | instskip(SKIP_2) | instid1(VALU_DEP_3)
	v_and_b32_e32 v18, 0xffff, v2
	v_add_nc_u32_e32 v21, 0x360, v0
	v_mul_lo_u32 v4, s24, v15
	v_mad_co_u64_u32 v[10:11], null, s16, v18, 0
	v_dual_mov_b32 v2, v7 :: v_dual_and_b32 v19, 0xffff, v13
	v_sub_nc_u16 v7, v14, v17
	v_mul_u32_u24_e32 v16, 0x437, v21
	s_delay_alu instid0(VALU_DEP_3)
	v_mad_co_u64_u32 v[12:13], null, s17, v12, v[2:3]
	v_mov_b32_e32 v2, v11
	v_mad_co_u64_u32 v[13:14], null, s16, v19, 0
	v_and_b32_e32 v25, 0xffff, v7
	v_lshrrev_b32_e32 v24, 18, v16
	v_lshlrev_b64_e32 v[15:16], 3, v[4:5]
	v_mov_b32_e32 v7, v12
	v_mad_co_u64_u32 v[11:12], null, s17, v18, v[2:3]
	v_mov_b32_e32 v2, v14
	v_mad_co_u64_u32 v[17:18], null, s16, v25, 0
	s_delay_alu instid0(VALU_DEP_4) | instskip(NEXT) | instid1(VALU_DEP_3)
	v_lshlrev_b64_e32 v[6:7], 3, v[6:7]
	v_mad_co_u64_u32 v[19:20], null, s17, v19, v[2:3]
	v_add_nc_u32_e32 v20, 0x438, v0
	s_delay_alu instid0(VALU_DEP_3) | instskip(SKIP_1) | instid1(VALU_DEP_4)
	v_add_co_u32 v2, vcc_lo, s18, v6
	s_wait_alu 0xfffd
	v_add_co_ci_u32_e32 v4, vcc_lo, s19, v7, vcc_lo
	v_lshlrev_b64_e32 v[6:7], 3, v[10:11]
	s_delay_alu instid0(VALU_DEP_3) | instskip(SKIP_1) | instid1(VALU_DEP_3)
	v_add_co_u32 v8, vcc_lo, v2, v8
	s_wait_alu 0xfffd
	v_add_co_ci_u32_e32 v9, vcc_lo, v4, v9, vcc_lo
	v_mul_lo_u16 v10, 0xf3, v24
	s_delay_alu instid0(VALU_DEP_4) | instskip(SKIP_2) | instid1(VALU_DEP_2)
	v_add_co_u32 v2, vcc_lo, s18, v6
	s_wait_alu 0xfffd
	v_add_co_ci_u32_e32 v4, vcc_lo, s19, v7, vcc_lo
	v_add_co_u32 v6, vcc_lo, v2, v15
	v_sub_nc_u16 v15, v21, v10
	v_mov_b32_e32 v14, v19
	v_mov_b32_e32 v2, v18
	s_wait_alu 0xfffd
	v_add_co_ci_u32_e32 v7, vcc_lo, v4, v16, vcc_lo
	v_mul_lo_u32 v4, s24, v22
	v_and_b32_e32 v19, 0xffff, v15
	v_lshlrev_b64_e32 v[10:11], 3, v[13:14]
	v_mad_co_u64_u32 v[12:13], null, s17, v25, v[2:3]
	v_mul_u32_u24_e32 v16, 0x437, v20
	s_delay_alu instid0(VALU_DEP_4) | instskip(NEXT) | instid1(VALU_DEP_4)
	v_mad_co_u64_u32 v[13:14], null, s16, v19, 0
	v_add_co_u32 v2, vcc_lo, s18, v10
	s_wait_alu 0xfffd
	v_add_co_ci_u32_e32 v15, vcc_lo, s19, v11, vcc_lo
	v_lshlrev_b64_e32 v[10:11], 3, v[4:5]
	v_lshrrev_b32_e32 v21, 18, v16
	v_mov_b32_e32 v18, v12
	v_mul_lo_u32 v4, s24, v23
	v_add_nc_u32_e32 v22, 0x5e8, v0
	v_add_co_u32 v10, vcc_lo, v2, v10
	v_mov_b32_e32 v2, v14
	v_mul_lo_u16 v12, 0xf3, v21
	s_wait_alu 0xfffd
	v_add_co_ci_u32_e32 v11, vcc_lo, v15, v11, vcc_lo
	v_lshlrev_b64_e32 v[14:15], 3, v[17:18]
	v_mad_co_u64_u32 v[18:19], null, s17, v19, v[2:3]
	v_sub_nc_u16 v2, v20, v12
	v_lshlrev_b64_e32 v[16:17], 3, v[4:5]
	v_add_nc_u32_e32 v20, 0x510, v0
	v_add_co_u32 v4, vcc_lo, s18, v14
	s_wait_alu 0xfffd
	v_add_co_ci_u32_e32 v12, vcc_lo, s19, v15, vcc_lo
	v_and_b32_e32 v19, 0xffff, v2
	s_delay_alu instid0(VALU_DEP_3)
	v_add_co_u32 v15, vcc_lo, v4, v16
	v_mul_u32_u24_e32 v2, 0x437, v20
	s_wait_alu 0xfffd
	v_add_co_ci_u32_e32 v16, vcc_lo, v12, v17, vcc_lo
	v_mov_b32_e32 v14, v18
	v_mad_co_u64_u32 v[17:18], null, s16, v19, 0
	v_lshrrev_b32_e32 v26, 18, v2
	v_mul_lo_u32 v4, s24, v24
	s_delay_alu instid0(VALU_DEP_4)
	v_lshlrev_b64_e32 v[12:13], 3, v[13:14]
	v_mul_u32_u24_e32 v23, 0x437, v22
	v_add_nc_u32_e32 v24, 0x6c0, v0
	v_mul_lo_u16 v14, 0xf3, v26
	v_mov_b32_e32 v2, v18
	s_clause 0x3
	global_load_b64 v[8:9], v[8:9], off
	global_load_b64 v[6:7], v[6:7], off
	;; [unrolled: 1-line block ×4, first 2 shown]
	v_mad_co_u64_u32 v[18:19], null, s17, v19, v[2:3]
	v_sub_nc_u16 v2, v20, v14
	v_lshrrev_b32_e32 v14, 18, v23
	v_mul_u32_u24_e32 v19, 0x437, v24
	v_add_co_u32 v23, vcc_lo, s18, v12
	s_delay_alu instid0(VALU_DEP_4) | instskip(NEXT) | instid1(VALU_DEP_4)
	v_and_b32_e32 v27, 0xffff, v2
	v_mul_lo_u16 v2, 0xf3, v14
	s_delay_alu instid0(VALU_DEP_4)
	v_lshrrev_b32_e32 v30, 18, v19
	s_wait_alu 0xfffd
	v_add_co_ci_u32_e32 v25, vcc_lo, s19, v13, vcc_lo
	v_lshlrev_b64_e32 v[12:13], 3, v[4:5]
	v_mad_co_u64_u32 v[19:20], null, s16, v27, 0
	v_sub_nc_u16 v2, v22, v2
	v_mul_lo_u16 v4, 0xf3, v30
	v_lshlrev_b64_e32 v[17:18], 3, v[17:18]
	v_add_co_u32 v12, vcc_lo, v23, v12
	s_delay_alu instid0(VALU_DEP_4) | instskip(NEXT) | instid1(VALU_DEP_4)
	v_and_b32_e32 v28, 0xffff, v2
	v_sub_nc_u16 v22, v24, v4
	v_mov_b32_e32 v2, v20
	v_mul_lo_u32 v4, s24, v21
	s_wait_alu 0xfffd
	v_add_co_ci_u32_e32 v13, vcc_lo, v25, v13, vcc_lo
	v_and_b32_e32 v29, 0xffff, v22
	v_mad_co_u64_u32 v[21:22], null, s16, v28, 0
	v_mad_co_u64_u32 v[23:24], null, s17, v27, v[2:3]
	s_delay_alu instid0(VALU_DEP_3) | instskip(SKIP_1) | instid1(VALU_DEP_4)
	v_mad_co_u64_u32 v[24:25], null, s16, v29, 0
	v_add_co_u32 v27, vcc_lo, s18, v17
	v_mov_b32_e32 v2, v22
	s_wait_alu 0xfffd
	v_add_co_ci_u32_e32 v31, vcc_lo, s19, v18, vcc_lo
	v_mov_b32_e32 v20, v23
	v_lshlrev_b64_e32 v[17:18], 3, v[4:5]
	v_mul_lo_u32 v4, s24, v26
	v_mad_co_u64_u32 v[22:23], null, s17, v28, v[2:3]
	v_mov_b32_e32 v2, v25
	v_lshlrev_b64_e32 v[19:20], 3, v[19:20]
	v_add_co_u32 v17, vcc_lo, v27, v17
	s_wait_alu 0xfffd
	v_add_co_ci_u32_e32 v18, vcc_lo, v31, v18, vcc_lo
	v_mad_co_u64_u32 v[28:29], null, s17, v29, v[2:3]
	v_lshlrev_b64_e32 v[26:27], 3, v[4:5]
	v_mul_lo_u32 v4, s24, v14
	v_add_co_u32 v2, vcc_lo, s18, v19
	s_wait_alu 0xfffd
	v_add_co_ci_u32_e32 v14, vcc_lo, s19, v20, vcc_lo
	v_mov_b32_e32 v25, v28
	v_lshlrev_b64_e32 v[19:20], 3, v[21:22]
	v_add_co_u32 v21, vcc_lo, v2, v26
	s_wait_alu 0xfffd
	v_add_co_ci_u32_e32 v22, vcc_lo, v14, v27, vcc_lo
	v_lshlrev_b64_e32 v[26:27], 3, v[4:5]
	v_mul_lo_u32 v4, s24, v30
	v_lshlrev_b64_e32 v[23:24], 3, v[24:25]
	v_add_co_u32 v2, vcc_lo, s18, v19
	s_wait_alu 0xfffd
	v_add_co_ci_u32_e32 v14, vcc_lo, s19, v20, vcc_lo
	s_delay_alu instid0(VALU_DEP_3)
	v_add_co_u32 v23, vcc_lo, s18, v23
	v_lshlrev_b64_e32 v[4:5], 3, v[4:5]
	s_wait_alu 0xfffd
	v_add_co_ci_u32_e32 v24, vcc_lo, s19, v24, vcc_lo
	v_add_co_u32 v19, vcc_lo, v2, v26
	s_wait_alu 0xfffd
	v_add_co_ci_u32_e32 v20, vcc_lo, v14, v27, vcc_lo
	v_add_co_u32 v4, vcc_lo, v23, v4
	s_wait_alu 0xfffd
	v_add_co_ci_u32_e32 v5, vcc_lo, v24, v5, vcc_lo
	s_clause 0x4
	global_load_b64 v[12:13], v[12:13], off
	global_load_b64 v[17:18], v[17:18], off
	global_load_b64 v[21:22], v[21:22], off
	global_load_b64 v[19:20], v[19:20], off
	global_load_b64 v[4:5], v[4:5], off
	v_add_nc_u32_e32 v2, 0xd00, v3
	v_add_nc_u32_e32 v14, 0x1a00, v3
	v_add_nc_u32_e32 v23, 0x2800, v3
	s_wait_loadcnt 0x7
	ds_store_2addr_b64 v3, v[8:9], v[6:7] offset1:216
	s_wait_loadcnt 0x5
	ds_store_2addr_b64 v2, v[10:11], v[15:16] offset0:16 offset1:232
	s_wait_loadcnt 0x3
	ds_store_2addr_b64 v14, v[12:13], v[17:18] offset0:32 offset1:248
	;; [unrolled: 2-line block ×3, first 2 shown]
	s_wait_loadcnt 0x0
	ds_store_b64 v3, v[4:5] offset:13824
.LBB0_10:
	v_mul_hi_u32 v2, 0x2f684bdb, v0
	v_mul_u32_u24_e32 v1, 0x97c, v1
	global_wb scope:SCOPE_SE
	s_wait_dscnt 0x0
	s_barrier_signal -1
	s_barrier_wait -1
	global_inv scope:SCOPE_SE
	v_lshrrev_b32_e32 v1, 16, v1
	s_mov_b32 s3, 0
	v_sub_nc_u32_e32 v3, v0, v2
	s_delay_alu instid0(VALU_DEP_2) | instskip(NEXT) | instid1(VALU_DEP_2)
	v_and_b32_e32 v1, 7, v1
	v_lshrrev_b32_e32 v3, 1, v3
	s_delay_alu instid0(VALU_DEP_2) | instskip(NEXT) | instid1(VALU_DEP_2)
	v_mul_lo_u16 v1, 0xf3, v1
	v_add_nc_u32_e32 v2, v3, v2
	s_delay_alu instid0(VALU_DEP_2) | instskip(NEXT) | instid1(VALU_DEP_2)
	v_and_b32_e32 v1, 0xffff, v1
	v_lshrrev_b32_e32 v2, 4, v2
	s_delay_alu instid0(VALU_DEP_2) | instskip(NEXT) | instid1(VALU_DEP_2)
	v_lshlrev_b32_e32 v7, 3, v1
	v_mul_lo_u32 v2, v2, 27
	s_delay_alu instid0(VALU_DEP_2) | instskip(NEXT) | instid1(VALU_DEP_2)
	v_add_nc_u32_e32 v3, 0, v7
	v_sub_nc_u32_e32 v26, v0, v2
	s_delay_alu instid0(VALU_DEP_1) | instskip(SKIP_1) | instid1(VALU_DEP_2)
	v_lshlrev_b32_e32 v1, 3, v26
	v_mul_lo_u16 v27, 0x56, v26
	v_add_nc_u32_e32 v2, v3, v1
	v_add3_u32 v1, 0, v1, v7
	s_delay_alu instid0(VALU_DEP_3)
	v_lshrrev_b16 v27, 8, v27
	ds_load_b64 v[24:25], v2
	ds_load_2addr_b64 v[8:11], v1 offset0:81 offset1:108
	ds_load_2addr_b64 v[12:15], v1 offset0:135 offset1:162
	;; [unrolled: 1-line block ×4, first 2 shown]
	v_lshlrev_b32_e32 v5, 4, v26
	v_add_nc_u32_e32 v6, 27, v26
	v_add_nc_u32_e32 v4, 54, v26
	v_mul_lo_u16 v31, v27, 3
	global_wb scope:SCOPE_SE
	s_wait_dscnt 0x0
	s_barrier_signal -1
	s_barrier_wait -1
	global_inv scope:SCOPE_SE
	v_add_f32_e32 v33, v24, v8
	v_dual_add_f32 v34, v8, v14 :: v_dual_sub_f32 v41, v11, v21
	v_sub_f32_e32 v44, v10, v20
	v_dual_add_f32 v39, v16, v10 :: v_dual_add_nc_u32 v30, v1, v5
	v_dual_add_f32 v37, v9, v15 :: v_dual_add_f32 v40, v10, v20
	s_delay_alu instid0(VALU_DEP_2)
	v_dual_add_f32 v43, v11, v21 :: v_dual_add_nc_u32 v32, 0x400, v30
	v_mul_lo_u16 v28, 0x56, v6
	v_add_f32_e32 v36, v25, v9
	v_dual_add_f32 v42, v17, v11 :: v_dual_add_f32 v45, v18, v12
	v_dual_add_f32 v46, v12, v22 :: v_dual_sub_f32 v47, v13, v23
	v_dual_add_f32 v48, v19, v13 :: v_dual_sub_f32 v35, v9, v15
	v_sub_f32_e32 v38, v8, v14
	v_fma_f32 v24, -0.5, v34, v24
	v_dual_fmac_f32 v25, -0.5, v37 :: v_dual_add_f32 v10, v39, v20
	v_dual_add_f32 v49, v13, v23 :: v_dual_sub_f32 v50, v12, v22
	v_fma_f32 v12, -0.5, v40, v16
	v_fma_f32 v13, -0.5, v43, v17
	v_mul_lo_u16 v29, 0x56, v4
	v_lshrrev_b16 v28, 8, v28
	v_dual_add_f32 v8, v33, v14 :: v_dual_add_f32 v9, v36, v15
	v_dual_add_f32 v11, v42, v21 :: v_dual_add_f32 v14, v45, v22
	v_fma_f32 v18, -0.5, v46, v18
	v_dual_add_f32 v15, v48, v23 :: v_dual_fmamk_f32 v16, v35, 0xbf5db3d7, v24
	v_fmamk_f32 v17, v38, 0x3f5db3d7, v25
	v_dual_fmac_f32 v25, 0xbf5db3d7, v38 :: v_dual_fmamk_f32 v20, v41, 0xbf5db3d7, v12
	v_fmamk_f32 v21, v44, 0x3f5db3d7, v13
	v_dual_fmac_f32 v19, -0.5, v49 :: v_dual_fmac_f32 v24, 0x3f5db3d7, v35
	v_fmac_f32_e32 v12, 0x3f5db3d7, v41
	v_dual_fmac_f32 v13, 0xbf5db3d7, v44 :: v_dual_fmamk_f32 v22, v47, 0xbf5db3d7, v18
	v_fmac_f32_e32 v18, 0x3f5db3d7, v47
	ds_store_b64 v30, v[14:15] offset:1296
	ds_store_2addr_b64 v30, v[8:9], v[16:17] offset1:1
	ds_store_2addr_b64 v30, v[10:11], v[20:21] offset0:81 offset1:82
	ds_store_2addr_b64 v30, v[24:25], v[12:13] offset0:2 offset1:83
	v_lshrrev_b16 v20, 8, v29
	v_mul_lo_u16 v8, v28, 3
	v_sub_nc_u16 v9, v26, v31
	v_mul_lo_u16 v21, v26, 29
	s_delay_alu instid0(VALU_DEP_4) | instskip(NEXT) | instid1(VALU_DEP_4)
	v_mul_lo_u16 v10, v20, 3
	v_sub_nc_u16 v8, v6, v8
	s_delay_alu instid0(VALU_DEP_4)
	v_and_b32_e32 v29, 0xff, v9
	v_fmamk_f32 v23, v50, 0x3f5db3d7, v19
	v_fmac_f32_e32 v19, 0xbf5db3d7, v50
	ds_store_2addr_b32 v32, v22, v23 offset0:70 offset1:71
	ds_store_2addr_b32 v32, v18, v19 offset0:72 offset1:73
	v_sub_nc_u16 v9, v4, v10
	v_and_b32_e32 v32, 0xff, v8
	v_lshlrev_b32_e32 v8, 4, v29
	global_wb scope:SCOPE_SE
	s_wait_dscnt 0x0
	s_barrier_signal -1
	s_barrier_wait -1
	global_inv scope:SCOPE_SE
	v_and_b32_e32 v33, 0xff, v9
	global_load_b128 v[8:11], v8, s[12:13]
	v_lshlrev_b32_e32 v12, 4, v32
	v_lshrrev_b16 v38, 8, v21
	v_mul_lo_u16 v22, v4, 57
	v_lshlrev_b32_e32 v16, 4, v33
	s_clause 0x1
	global_load_b128 v[12:15], v12, s[12:13]
	global_load_b128 v[16:19], v16, s[12:13]
	v_mul_lo_u16 v24, v38, 9
	v_lshrrev_b16 v40, 9, v22
	v_and_b32_e32 v23, 0xffff, v27
	v_mul_lo_u16 v21, v6, 57
	s_delay_alu instid0(VALU_DEP_4) | instskip(NEXT) | instid1(VALU_DEP_4)
	v_sub_nc_u16 v22, v26, v24
	v_mul_lo_u16 v24, v40, 9
	s_delay_alu instid0(VALU_DEP_4) | instskip(NEXT) | instid1(VALU_DEP_4)
	v_mad_u32_u24 v34, 0x48, v23, 0
	v_lshrrev_b16 v39, 9, v21
	s_delay_alu instid0(VALU_DEP_3)
	v_sub_nc_u16 v37, v4, v24
	ds_load_2addr_b64 v[24:27], v1 offset0:135 offset1:162
	v_mul_lo_u16 v23, v39, 9
	v_and_b32_e32 v20, 0xffff, v20
	s_wait_loadcnt_dscnt 0x200
	v_mul_f32_e32 v50, v11, v27
	v_mul_f32_e32 v11, v11, v26
	v_and_b32_e32 v21, 0xffff, v28
	v_sub_nc_u16 v28, v6, v23
	v_lshlrev_b32_e32 v42, 3, v29
	v_mad_u32_u24 v36, 0x48, v20, 0
	v_fmac_f32_e32 v50, v10, v26
	v_mad_u32_u24 v35, 0x48, v21, 0
	v_and_b32_e32 v44, 0xff, v28
	ds_load_2addr_b64 v[28:31], v1 offset0:189 offset1:216
	s_wait_loadcnt 0x0
	v_mul_f32_e32 v53, v17, v25
	s_wait_dscnt 0x0
	v_dual_mul_f32 v52, v15, v29 :: v_dual_and_b32 v41, 0xff, v22
	ds_load_2addr_b64 v[20:23], v1 offset0:81 offset1:108
	v_mul_f32_e32 v54, v31, v19
	v_mul_f32_e32 v19, v30, v19
	v_dual_fmac_f32 v52, v14, v28 :: v_dual_lshlrev_b32 v43, 4, v41
	s_wait_dscnt 0x0
	s_delay_alu instid0(VALU_DEP_3) | instskip(SKIP_3) | instid1(VALU_DEP_4)
	v_dual_fmac_f32 v54, v30, v18 :: v_dual_mul_f32 v49, v9, v21
	v_mul_f32_e32 v9, v9, v20
	v_mul_f32_e32 v51, v13, v23
	v_dual_mul_f32 v13, v13, v22 :: v_dual_lshlrev_b32 v32, 3, v32
	v_fmac_f32_e32 v49, v8, v20
	s_delay_alu instid0(VALU_DEP_4)
	v_fma_f32 v8, v8, v21, -v9
	v_fma_f32 v9, v10, v27, -v11
	v_mul_f32_e32 v15, v15, v28
	v_fma_f32 v10, v12, v23, -v13
	v_and_b32_e32 v45, 0xff, v37
	v_add3_u32 v42, v34, v42, v7
	v_add3_u32 v47, v35, v32, v7
	v_fma_f32 v11, v14, v29, -v15
	v_dual_fmac_f32 v51, v12, v22 :: v_dual_lshlrev_b32 v46, 4, v44
	v_fma_f32 v15, v31, v18, -v19
	v_add_f32_e32 v18, v8, v9
	s_delay_alu instid0(VALU_DEP_4) | instskip(SKIP_1) | instid1(VALU_DEP_2)
	v_dual_sub_f32 v22, v10, v11 :: v_dual_lshlrev_b32 v33, 3, v33
	v_add_f32_e32 v14, v49, v50
	v_add3_u32 v48, v36, v33, v7
	ds_load_b64 v[36:37], v2
	ds_load_2addr_b64 v[32:35], v1 offset0:27 offset1:54
	v_mul_f32_e32 v17, v17, v24
	global_wb scope:SCOPE_SE
	s_wait_dscnt 0x0
	s_barrier_signal -1
	s_barrier_wait -1
	global_inv scope:SCOPE_SE
	v_add_f32_e32 v13, v36, v49
	v_dual_fmac_f32 v53, v16, v24 :: v_dual_add_f32 v24, v10, v11
	v_add_f32_e32 v20, v32, v51
	v_fma_f32 v12, v16, v25, -v17
	v_add_f32_e32 v21, v51, v52
	v_add_f32_e32 v16, v37, v8
	;; [unrolled: 1-line block ×3, first 2 shown]
	v_fma_f32 v36, -0.5, v14, v36
	v_add_f32_e32 v30, v12, v15
	v_dual_sub_f32 v28, v12, v15 :: v_dual_add_f32 v29, v35, v12
	v_fma_f32 v12, -0.5, v21, v32
	v_dual_sub_f32 v17, v8, v9 :: v_dual_add_f32 v8, v13, v50
	v_dual_add_f32 v27, v53, v54 :: v_dual_add_f32 v10, v20, v52
	v_dual_sub_f32 v19, v49, v50 :: v_dual_add_f32 v26, v34, v53
	v_fma_f32 v13, -0.5, v24, v33
	s_delay_alu instid0(VALU_DEP_3) | instskip(SKIP_2) | instid1(VALU_DEP_3)
	v_fma_f32 v34, -0.5, v27, v34
	v_dual_fmac_f32 v37, -0.5, v18 :: v_dual_fmamk_f32 v18, v22, 0xbf5db3d7, v12
	v_sub_f32_e32 v25, v51, v52
	v_dual_sub_f32 v31, v53, v54 :: v_dual_fmamk_f32 v20, v28, 0xbf5db3d7, v34
	v_dual_fmac_f32 v35, -0.5, v30 :: v_dual_and_b32 v24, 0xffff, v39
	v_dual_add_f32 v9, v16, v9 :: v_dual_fmac_f32 v12, 0x3f5db3d7, v22
	v_fmamk_f32 v16, v17, 0xbf5db3d7, v36
	v_fmac_f32_e32 v36, 0x3f5db3d7, v17
	v_dual_fmac_f32 v34, 0x3f5db3d7, v28 :: v_dual_fmamk_f32 v17, v19, 0x3f5db3d7, v37
	v_fmac_f32_e32 v37, 0xbf5db3d7, v19
	v_add_f32_e32 v11, v23, v11
	v_fmamk_f32 v19, v25, 0x3f5db3d7, v13
	v_dual_fmac_f32 v13, 0xbf5db3d7, v25 :: v_dual_add_f32 v14, v26, v54
	v_dual_add_f32 v15, v29, v15 :: v_dual_and_b32 v28, 0xffff, v40
	v_fmamk_f32 v21, v31, 0x3f5db3d7, v35
	v_fmac_f32_e32 v35, 0xbf5db3d7, v31
	ds_store_2addr_b64 v42, v[8:9], v[16:17] offset1:3
	ds_store_b64 v42, v[36:37] offset:48
	ds_store_2addr_b64 v47, v[10:11], v[18:19] offset1:3
	ds_store_b64 v47, v[12:13] offset:48
	;; [unrolled: 2-line block ×3, first 2 shown]
	v_lshlrev_b32_e32 v16, 4, v45
	global_wb scope:SCOPE_SE
	s_wait_dscnt 0x0
	s_barrier_signal -1
	s_barrier_wait -1
	global_inv scope:SCOPE_SE
	s_clause 0x2
	global_load_b128 v[8:11], v43, s[12:13] offset:48
	global_load_b128 v[12:15], v46, s[12:13] offset:48
	;; [unrolled: 1-line block ×3, first 2 shown]
	v_mul_lo_u16 v20, v4, 19
	v_mad_u32_u24 v34, 0xd8, v28, 0
	v_mad_u32_u24 v33, 0xd8, v24, 0
	ds_load_2addr_b64 v[24:27], v1 offset0:135 offset1:162
	v_lshlrev_b32_e32 v36, 3, v41
	v_lshrrev_b16 v20, 9, v20
	s_delay_alu instid0(VALU_DEP_1) | instskip(NEXT) | instid1(VALU_DEP_1)
	v_mul_lo_u16 v29, v20, 27
	v_sub_nc_u16 v35, v4, v29
	ds_load_2addr_b64 v[28:31], v1 offset0:189 offset1:216
	s_wait_loadcnt_dscnt 0x201
	v_mul_f32_e32 v42, v11, v27
	s_wait_loadcnt_dscnt 0x0
	v_dual_mul_f32 v46, v31, v19 :: v_dual_lshlrev_b32 v37, 3, v44
	v_dual_mul_f32 v44, v15, v29 :: v_dual_and_b32 v21, 0xffff, v38
	v_lshlrev_b32_e32 v38, 3, v45
	s_delay_alu instid0(VALU_DEP_3) | instskip(NEXT) | instid1(VALU_DEP_3)
	v_dual_mul_f32 v45, v17, v25 :: v_dual_fmac_f32 v46, v30, v18
	v_fmac_f32_e32 v44, v14, v28
	s_delay_alu instid0(VALU_DEP_4)
	v_mad_u32_u24 v32, 0xd8, v21, 0
	ds_load_2addr_b64 v[20:23], v1 offset0:81 offset1:108
	v_add3_u32 v41, v33, v37, v7
	v_add3_u32 v38, v34, v38, v7
	v_fmac_f32_e32 v45, v16, v24
	v_add3_u32 v40, v32, v36, v7
	v_dual_mul_f32 v17, v17, v24 :: v_dual_fmac_f32 v42, v10, v26
	s_wait_dscnt 0x0
	v_mul_f32_e32 v43, v13, v23
	v_mul_f32_e32 v13, v13, v22
	s_delay_alu instid0(VALU_DEP_2) | instskip(SKIP_2) | instid1(VALU_DEP_2)
	v_fmac_f32_e32 v43, v12, v22
	v_mul_f32_e32 v7, v9, v21
	v_mul_f32_e32 v9, v9, v20
	v_fmac_f32_e32 v7, v8, v20
	s_delay_alu instid0(VALU_DEP_2) | instskip(SKIP_1) | instid1(VALU_DEP_1)
	v_fma_f32 v8, v8, v21, -v9
	v_mul_f32_e32 v11, v11, v26
	v_fma_f32 v9, v10, v27, -v11
	v_and_b32_e32 v39, 0xff, v35
	ds_load_b64 v[36:37], v2
	ds_load_2addr_b64 v[32:35], v1 offset0:27 offset1:54
	v_fma_f32 v10, v12, v23, -v13
	v_fma_f32 v11, v16, v25, -v17
	v_sub_f32_e32 v16, v8, v9
	global_wb scope:SCOPE_SE
	s_wait_dscnt 0x0
	s_barrier_signal -1
	s_barrier_wait -1
	global_inv scope:SCOPE_SE
	v_lshl_add_u32 v3, v39, 3, v3
	v_add_f32_e32 v17, v37, v8
	v_mul_f32_e32 v15, v15, v28
	v_add_f32_e32 v23, v33, v10
	s_delay_alu instid0(VALU_DEP_2) | instskip(SKIP_1) | instid1(VALU_DEP_2)
	v_fma_f32 v12, v14, v29, -v15
	v_mul_f32_e32 v19, v30, v19
	v_dual_add_f32 v29, v35, v11 :: v_dual_sub_f32 v22, v10, v12
	v_add_f32_e32 v24, v10, v12
	v_add_f32_e32 v10, v23, v12
	s_delay_alu instid0(VALU_DEP_4) | instskip(SKIP_3) | instid1(VALU_DEP_4)
	v_fma_f32 v14, v31, v18, -v19
	v_add_f32_e32 v18, v8, v9
	v_add_f32_e32 v8, v17, v9
	v_fma_f32 v12, -0.5, v24, v33
	v_sub_f32_e32 v28, v11, v14
	v_add_f32_e32 v30, v11, v14
	v_add_f32_e32 v14, v29, v14
	;; [unrolled: 1-line block ×3, first 2 shown]
	v_sub_f32_e32 v19, v7, v42
	v_fmac_f32_e32 v37, -0.5, v18
	v_add_f32_e32 v13, v36, v7
	v_fmac_f32_e32 v35, -0.5, v30
	v_fma_f32 v36, -0.5, v15, v36
	s_delay_alu instid0(VALU_DEP_1) | instskip(SKIP_4) | instid1(VALU_DEP_3)
	v_fmamk_f32 v15, v16, 0xbf5db3d7, v36
	v_fmac_f32_e32 v36, 0x3f5db3d7, v16
	v_sub_f32_e32 v25, v43, v44
	v_dual_add_f32 v21, v43, v44 :: v_dual_add_f32 v20, v32, v43
	v_dual_fmamk_f32 v16, v19, 0x3f5db3d7, v37 :: v_dual_add_f32 v7, v13, v42
	v_fmamk_f32 v18, v25, 0x3f5db3d7, v12
	v_add_f32_e32 v27, v45, v46
	s_delay_alu instid0(VALU_DEP_4) | instskip(SKIP_2) | instid1(VALU_DEP_4)
	v_fma_f32 v11, -0.5, v21, v32
	v_dual_add_f32 v26, v34, v45 :: v_dual_sub_f32 v31, v45, v46
	v_fmac_f32_e32 v37, 0xbf5db3d7, v19
	v_fma_f32 v34, -0.5, v27, v34
	v_add_f32_e32 v9, v20, v44
	v_fmamk_f32 v17, v22, 0xbf5db3d7, v11
	v_fmac_f32_e32 v11, 0x3f5db3d7, v22
	v_dual_fmac_f32 v12, 0xbf5db3d7, v25 :: v_dual_add_f32 v13, v26, v46
	v_fmamk_f32 v19, v28, 0xbf5db3d7, v34
	v_fmamk_f32 v20, v31, 0x3f5db3d7, v35
	v_fmac_f32_e32 v34, 0x3f5db3d7, v28
	v_fmac_f32_e32 v35, 0xbf5db3d7, v31
	ds_store_2addr_b64 v40, v[7:8], v[15:16] offset1:9
	ds_store_b64 v40, v[36:37] offset:144
	ds_store_2addr_b64 v41, v[9:10], v[17:18] offset1:9
	ds_store_b64 v41, v[11:12] offset:144
	;; [unrolled: 2-line block ×3, first 2 shown]
	v_lshlrev_b32_e32 v11, 4, v39
	global_wb scope:SCOPE_SE
	s_wait_dscnt 0x0
	s_barrier_signal -1
	s_barrier_wait -1
	global_inv scope:SCOPE_SE
	s_clause 0x1
	global_load_b128 v[7:10], v5, s[12:13] offset:192
	global_load_b128 v[11:14], v11, s[12:13] offset:192
	ds_load_2addr_b64 v[15:18], v1 offset0:81 offset1:108
	ds_load_2addr_b64 v[19:22], v1 offset0:135 offset1:162
	ds_load_2addr_b64 v[23:26], v1 offset0:189 offset1:216
	ds_load_b64 v[31:32], v2
	ds_load_2addr_b64 v[27:30], v1 offset0:27 offset1:54
	global_wb scope:SCOPE_SE
	s_wait_loadcnt_dscnt 0x0
	s_barrier_signal -1
	s_barrier_wait -1
	global_inv scope:SCOPE_SE
	v_mul_f32_e32 v34, v8, v15
	v_dual_mul_f32 v39, v12, v20 :: v_dual_mul_f32 v40, v26, v14
	v_mul_f32_e32 v14, v25, v14
	v_dual_mul_f32 v36, v10, v21 :: v_dual_mul_f32 v37, v8, v18
	v_mul_f32_e32 v12, v12, v19
	s_delay_alu instid0(VALU_DEP_4) | instskip(NEXT) | instid1(VALU_DEP_4)
	v_fmac_f32_e32 v40, v25, v13
	v_fma_f32 v13, v26, v13, -v14
	v_fmac_f32_e32 v39, v11, v19
	v_dual_mul_f32 v6, v8, v16 :: v_dual_lshlrev_b32 v33, 4, v6
	v_mul_f32_e32 v8, v8, v17
	v_dual_mul_f32 v38, v10, v24 :: v_dual_fmac_f32 v37, v7, v17
	s_delay_alu instid0(VALU_DEP_3)
	v_fmac_f32_e32 v6, v7, v15
	v_fma_f32 v15, v7, v16, -v34
	v_fma_f32 v16, v9, v22, -v36
	;; [unrolled: 1-line block ×4, first 2 shown]
	v_mul_f32_e32 v35, v10, v22
	v_mul_f32_e32 v10, v10, v23
	v_fmac_f32_e32 v38, v9, v23
	v_add_f32_e32 v12, v32, v15
	v_sub_f32_e32 v26, v8, v13
	v_dual_add_f32 v14, v15, v16 :: v_dual_fmac_f32 v35, v9, v21
	v_fma_f32 v9, v9, v24, -v10
	v_add_f32_e32 v36, v8, v13
	v_add_f32_e32 v24, v29, v39
	s_delay_alu instid0(VALU_DEP_4)
	v_fmac_f32_e32 v32, -0.5, v14
	v_dual_sub_f32 v18, v6, v35 :: v_dual_sub_f32 v17, v15, v16
	v_dual_sub_f32 v20, v7, v9 :: v_dual_add_f32 v21, v28, v7
	v_add_f32_e32 v22, v7, v9
	v_add_f32_e32 v34, v30, v8
	;; [unrolled: 1-line block ×3, first 2 shown]
	v_dual_add_f32 v12, v24, v40 :: v_dual_add_f32 v15, v27, v37
	v_dual_fmac_f32 v30, -0.5, v36 :: v_dual_add_f32 v11, v6, v35
	v_add_f32_e32 v10, v31, v6
	v_add_f32_e32 v19, v37, v38
	;; [unrolled: 1-line block ×4, first 2 shown]
	v_fma_f32 v31, -0.5, v11, v31
	v_add_f32_e32 v6, v10, v35
	v_fma_f32 v10, -0.5, v19, v27
	v_sub_f32_e32 v23, v37, v38
	v_fma_f32 v11, -0.5, v22, v28
	v_sub_f32_e32 v37, v39, v40
	v_fma_f32 v29, -0.5, v25, v29
	v_fmamk_f32 v15, v18, 0x3f5db3d7, v32
	v_fmac_f32_e32 v32, 0xbf5db3d7, v18
	v_fmamk_f32 v14, v17, 0xbf5db3d7, v31
	v_add_f32_e32 v9, v21, v9
	v_fmac_f32_e32 v31, 0x3f5db3d7, v17
	v_fmamk_f32 v16, v20, 0xbf5db3d7, v10
	v_dual_fmac_f32 v10, 0x3f5db3d7, v20 :: v_dual_fmamk_f32 v17, v23, 0x3f5db3d7, v11
	v_fmac_f32_e32 v11, 0xbf5db3d7, v23
	v_add_f32_e32 v13, v34, v13
	v_fmamk_f32 v18, v26, 0xbf5db3d7, v29
	v_fmamk_f32 v19, v37, 0x3f5db3d7, v30
	v_fmac_f32_e32 v29, 0x3f5db3d7, v26
	v_fmac_f32_e32 v30, 0xbf5db3d7, v37
	ds_store_2addr_b64 v1, v[6:7], v[14:15] offset1:27
	ds_store_2addr_b64 v1, v[31:32], v[8:9] offset0:54 offset1:81
	ds_store_2addr_b64 v1, v[16:17], v[10:11] offset0:108 offset1:135
	;; [unrolled: 1-line block ×3, first 2 shown]
	ds_store_b64 v3, v[29:30] offset:1728
	global_wb scope:SCOPE_SE
	s_wait_dscnt 0x0
	s_barrier_signal -1
	s_barrier_wait -1
	global_inv scope:SCOPE_SE
	global_load_b128 v[5:8], v5, s[12:13] offset:624
	v_lshlrev_b32_e32 v3, 4, v4
	s_clause 0x1
	global_load_b128 v[9:12], v33, s[12:13] offset:624
	global_load_b128 v[13:16], v3, s[12:13] offset:624
	ds_load_2addr_b64 v[17:20], v1 offset0:81 offset1:108
	ds_load_2addr_b64 v[21:24], v1 offset0:135 offset1:162
	;; [unrolled: 1-line block ×3, first 2 shown]
	v_and_b32_e32 v3, 7, v0
	ds_load_b64 v[33:34], v2
	ds_load_2addr_b64 v[29:32], v1 offset0:27 offset1:54
	v_add_nc_u32_e32 v35, 0x400, v1
	global_wb scope:SCOPE_SE
	s_wait_loadcnt_dscnt 0x0
	s_barrier_signal -1
	v_or_b32_e32 v4, s8, v3
	s_barrier_wait -1
	global_inv scope:SCOPE_SE
	v_cmp_gt_u32_e32 vcc_lo, s10, v4
	s_or_b32 s7, s7, vcc_lo
	v_mul_f32_e32 v2, v6, v18
	v_mul_f32_e32 v4, v6, v17
	;; [unrolled: 1-line block ×5, first 2 shown]
	v_dual_mul_f32 v10, v10, v19 :: v_dual_mul_f32 v37, v12, v26
	v_mul_f32_e32 v12, v12, v25
	v_mul_f32_e32 v38, v14, v22
	s_delay_alu instid0(VALU_DEP_4) | instskip(SKIP_2) | instid1(VALU_DEP_4)
	v_fmac_f32_e32 v36, v9, v19
	v_dual_mul_f32 v14, v14, v21 :: v_dual_mul_f32 v39, v28, v16
	v_mul_f32_e32 v16, v27, v16
	v_fmac_f32_e32 v38, v13, v21
	v_fmac_f32_e32 v2, v5, v17
	v_fma_f32 v4, v5, v18, -v4
	v_fmac_f32_e32 v6, v7, v23
	v_fma_f32 v5, v7, v24, -v8
	v_fma_f32 v7, v9, v20, -v10
	v_fmac_f32_e32 v37, v11, v25
	v_fma_f32 v8, v11, v26, -v12
	v_add_f32_e32 v12, v2, v6
	v_fma_f32 v9, v13, v22, -v14
	v_dual_fmac_f32 v39, v27, v15 :: v_dual_add_f32 v14, v34, v4
	v_fma_f32 v10, v28, v15, -v16
	v_dual_add_f32 v15, v4, v5 :: v_dual_add_f32 v16, v29, v36
	v_dual_add_f32 v17, v36, v37 :: v_dual_add_f32 v20, v7, v8
	v_dual_add_f32 v11, v33, v2 :: v_dual_sub_f32 v18, v7, v8
	v_dual_add_f32 v19, v30, v7 :: v_dual_add_f32 v22, v31, v38
	v_dual_add_f32 v23, v38, v39 :: v_dual_add_f32 v26, v9, v10
	v_dual_sub_f32 v13, v4, v5 :: v_dual_sub_f32 v2, v2, v6
	s_delay_alu instid0(VALU_DEP_4)
	v_dual_add_f32 v25, v32, v9 :: v_dual_add_f32 v4, v11, v6
	v_fma_f32 v33, -0.5, v12, v33
	v_dual_add_f32 v5, v14, v5 :: v_dual_fmac_f32 v34, -0.5, v15
	v_dual_sub_f32 v21, v36, v37 :: v_dual_sub_f32 v24, v9, v10
	v_fma_f32 v12, -0.5, v17, v29
	v_fma_f32 v14, -0.5, v20, v30
	v_dual_sub_f32 v27, v38, v39 :: v_dual_add_f32 v6, v16, v37
	v_dual_add_f32 v7, v19, v8 :: v_dual_add_f32 v8, v22, v39
	v_fma_f32 v15, -0.5, v23, v31
	v_fmac_f32_e32 v32, -0.5, v26
	v_add_f32_e32 v9, v25, v10
	v_fmamk_f32 v10, v13, 0xbf5db3d7, v33
	v_fmac_f32_e32 v33, 0x3f5db3d7, v13
	v_fmamk_f32 v11, v2, 0x3f5db3d7, v34
	v_fmac_f32_e32 v34, 0xbf5db3d7, v2
	v_fmamk_f32 v2, v18, 0xbf5db3d7, v12
	v_fmamk_f32 v13, v21, 0x3f5db3d7, v14
	v_fmac_f32_e32 v12, 0x3f5db3d7, v18
	v_fmac_f32_e32 v14, 0xbf5db3d7, v21
	v_fmamk_f32 v16, v24, 0xbf5db3d7, v15
	v_fmac_f32_e32 v15, 0x3f5db3d7, v24
	v_fmamk_f32 v17, v27, 0x3f5db3d7, v32
	v_fmac_f32_e32 v32, 0xbf5db3d7, v27
	ds_store_2addr_b64 v1, v[4:5], v[6:7] offset1:27
	ds_store_b64 v1, v[33:34] offset:1296
	ds_store_2addr_b32 v1, v2, v13 offset0:216 offset1:217
	ds_store_2addr_b32 v35, v12, v14 offset0:122 offset1:123
	ds_store_2addr_b64 v1, v[8:9], v[10:11] offset0:54 offset1:81
	ds_store_2addr_b32 v35, v16, v17 offset0:14 offset1:15
	ds_store_2addr_b32 v35, v15, v32 offset0:176 offset1:177
	global_wb scope:SCOPE_SE
	s_wait_dscnt 0x0
	s_barrier_signal -1
	s_barrier_wait -1
	global_inv scope:SCOPE_SE
	s_and_saveexec_b32 s9, s7
	s_cbranch_execz .LBB0_12
; %bb.11:
	v_mad_co_u64_u32 v[4:5], null, s4, v3, 0
	s_load_b64 s[0:1], s[0:1], 0x60
	v_lshrrev_b32_e32 v2, 3, v0
	s_mov_b32 s9, s3
	s_mul_i32 s2, s2, s22
	s_mul_u64 s[10:11], s[14:15], s[20:21]
	s_wait_alu 0xfffe
	s_lshl_b64 s[2:3], s[2:3], 3
	v_dual_mov_b32 v1, v5 :: v_dual_and_b32 v6, 0xf8, v0
	v_mul_lo_u32 v8, v2, s6
	v_mul_u32_u24_e32 v5, 0x798, v3
	s_mul_i32 s6, s6, 27
	s_delay_alu instid0(VALU_DEP_3) | instskip(SKIP_1) | instid1(VALU_DEP_3)
	v_mad_co_u64_u32 v[0:1], null, s5, v3, v[1:2]
	v_mov_b32_e32 v9, 0
	v_add3_u32 v16, 0, v5, v6
	s_mul_u64 s[4:5], s[4:5], s[8:9]
	s_wait_alu 0xfffe
	s_lshl_b64 s[4:5], s[4:5], 3
	v_lshlrev_b64_e32 v[6:7], 3, v[8:9]
	s_delay_alu instid0(VALU_DEP_4)
	v_dual_mov_b32 v5, v0 :: v_dual_add_nc_u32 v8, s6, v8
	ds_load_2addr_b64 v[0:3], v16 offset1:27
	s_wait_kmcnt 0x0
	s_wait_alu 0xfffe
	s_add_nc_u64 s[0:1], s[0:1], s[4:5]
	s_lshl_b64 s[4:5], s[10:11], 3
	v_lshlrev_b64_e32 v[10:11], 3, v[8:9]
	v_add_nc_u32_e32 v8, s6, v8
	v_lshlrev_b64_e32 v[4:5], 3, v[4:5]
	s_add_nc_u64 s[0:1], s[0:1], s[2:3]
	s_wait_alu 0xfffe
	s_add_nc_u64 s[0:1], s[0:1], s[4:5]
	v_lshlrev_b64_e32 v[14:15], 3, v[8:9]
	v_add_nc_u32_e32 v8, s6, v8
	v_add_co_u32 v20, vcc_lo, s0, v4
	s_wait_alu 0xfffd
	v_add_co_ci_u32_e32 v21, vcc_lo, s1, v5, vcc_lo
	s_delay_alu instid0(VALU_DEP_2) | instskip(SKIP_1) | instid1(VALU_DEP_2)
	v_add_co_u32 v12, vcc_lo, v20, v6
	s_wait_alu 0xfffd
	v_add_co_ci_u32_e32 v13, vcc_lo, v21, v7, vcc_lo
	ds_load_2addr_b64 v[4:7], v16 offset0:54 offset1:81
	s_wait_dscnt 0x1
	global_store_b64 v[12:13], v[0:1], off
	v_add_co_u32 v0, vcc_lo, v20, v10
	s_wait_alu 0xfffd
	v_add_co_ci_u32_e32 v1, vcc_lo, v21, v11, vcc_lo
	v_lshlrev_b64_e32 v[10:11], 3, v[8:9]
	v_add_nc_u32_e32 v8, s6, v8
	v_add_co_u32 v12, vcc_lo, v20, v14
	s_wait_alu 0xfffd
	v_add_co_ci_u32_e32 v13, vcc_lo, v21, v15, vcc_lo
	s_delay_alu instid0(VALU_DEP_4)
	v_add_co_u32 v10, vcc_lo, v20, v10
	v_lshlrev_b64_e32 v[14:15], 3, v[8:9]
	v_add_nc_u32_e32 v8, s6, v8
	s_wait_alu 0xfffd
	v_add_co_ci_u32_e32 v11, vcc_lo, v21, v11, vcc_lo
	global_store_b64 v[0:1], v[2:3], off
	s_wait_dscnt 0x0
	s_clause 0x1
	global_store_b64 v[12:13], v[4:5], off
	global_store_b64 v[10:11], v[6:7], off
	v_lshlrev_b64_e32 v[10:11], 3, v[8:9]
	v_add_nc_u32_e32 v8, s6, v8
	v_add_co_u32 v12, vcc_lo, v20, v14
	ds_load_2addr_b64 v[0:3], v16 offset0:108 offset1:135
	s_wait_alu 0xfffd
	v_add_co_ci_u32_e32 v13, vcc_lo, v21, v15, vcc_lo
	v_lshlrev_b64_e32 v[14:15], 3, v[8:9]
	v_add_nc_u32_e32 v8, s6, v8
	ds_load_2addr_b64 v[4:7], v16 offset0:162 offset1:189
	ds_load_b64 v[16:17], v16 offset:1728
	v_add_co_u32 v10, vcc_lo, v20, v10
	v_lshlrev_b64_e32 v[18:19], 3, v[8:9]
	v_add_nc_u32_e32 v8, s6, v8
	s_wait_alu 0xfffd
	v_add_co_ci_u32_e32 v11, vcc_lo, v21, v11, vcc_lo
	v_add_co_u32 v14, vcc_lo, v20, v14
	s_delay_alu instid0(VALU_DEP_3)
	v_lshlrev_b64_e32 v[8:9], 3, v[8:9]
	s_wait_alu 0xfffd
	v_add_co_ci_u32_e32 v15, vcc_lo, v21, v15, vcc_lo
	v_add_co_u32 v18, vcc_lo, v20, v18
	s_wait_alu 0xfffd
	v_add_co_ci_u32_e32 v19, vcc_lo, v21, v19, vcc_lo
	v_add_co_u32 v8, vcc_lo, v20, v8
	s_wait_alu 0xfffd
	v_add_co_ci_u32_e32 v9, vcc_lo, v21, v9, vcc_lo
	s_wait_dscnt 0x2
	s_clause 0x1
	global_store_b64 v[12:13], v[0:1], off
	global_store_b64 v[10:11], v[2:3], off
	s_wait_dscnt 0x1
	s_clause 0x1
	global_store_b64 v[14:15], v[4:5], off
	global_store_b64 v[18:19], v[6:7], off
	s_wait_dscnt 0x0
	global_store_b64 v[8:9], v[16:17], off
.LBB0_12:
	s_nop 0
	s_sendmsg sendmsg(MSG_DEALLOC_VGPRS)
	s_endpgm
	.section	.rodata,"a",@progbits
	.p2align	6, 0x0
	.amdhsa_kernel fft_rtc_back_len243_factors_3_3_3_3_3_wgs_216_tpt_27_sp_op_CI_CI_sbrc_xy_z_unaligned
		.amdhsa_group_segment_fixed_size 0
		.amdhsa_private_segment_fixed_size 0
		.amdhsa_kernarg_size 104
		.amdhsa_user_sgpr_count 2
		.amdhsa_user_sgpr_dispatch_ptr 0
		.amdhsa_user_sgpr_queue_ptr 0
		.amdhsa_user_sgpr_kernarg_segment_ptr 1
		.amdhsa_user_sgpr_dispatch_id 0
		.amdhsa_user_sgpr_private_segment_size 0
		.amdhsa_wavefront_size32 1
		.amdhsa_uses_dynamic_stack 0
		.amdhsa_enable_private_segment 0
		.amdhsa_system_sgpr_workgroup_id_x 1
		.amdhsa_system_sgpr_workgroup_id_y 0
		.amdhsa_system_sgpr_workgroup_id_z 0
		.amdhsa_system_sgpr_workgroup_info 0
		.amdhsa_system_vgpr_workitem_id 0
		.amdhsa_next_free_vgpr 55
		.amdhsa_next_free_sgpr 32
		.amdhsa_reserve_vcc 1
		.amdhsa_float_round_mode_32 0
		.amdhsa_float_round_mode_16_64 0
		.amdhsa_float_denorm_mode_32 3
		.amdhsa_float_denorm_mode_16_64 3
		.amdhsa_fp16_overflow 0
		.amdhsa_workgroup_processor_mode 1
		.amdhsa_memory_ordered 1
		.amdhsa_forward_progress 0
		.amdhsa_round_robin_scheduling 0
		.amdhsa_exception_fp_ieee_invalid_op 0
		.amdhsa_exception_fp_denorm_src 0
		.amdhsa_exception_fp_ieee_div_zero 0
		.amdhsa_exception_fp_ieee_overflow 0
		.amdhsa_exception_fp_ieee_underflow 0
		.amdhsa_exception_fp_ieee_inexact 0
		.amdhsa_exception_int_div_zero 0
	.end_amdhsa_kernel
	.text
.Lfunc_end0:
	.size	fft_rtc_back_len243_factors_3_3_3_3_3_wgs_216_tpt_27_sp_op_CI_CI_sbrc_xy_z_unaligned, .Lfunc_end0-fft_rtc_back_len243_factors_3_3_3_3_3_wgs_216_tpt_27_sp_op_CI_CI_sbrc_xy_z_unaligned
                                        ; -- End function
	.section	.AMDGPU.csdata,"",@progbits
; Kernel info:
; codeLenInByte = 6344
; NumSgprs: 34
; NumVgprs: 55
; ScratchSize: 0
; MemoryBound: 0
; FloatMode: 240
; IeeeMode: 1
; LDSByteSize: 0 bytes/workgroup (compile time only)
; SGPRBlocks: 4
; VGPRBlocks: 6
; NumSGPRsForWavesPerEU: 34
; NumVGPRsForWavesPerEU: 55
; Occupancy: 16
; WaveLimiterHint : 1
; COMPUTE_PGM_RSRC2:SCRATCH_EN: 0
; COMPUTE_PGM_RSRC2:USER_SGPR: 2
; COMPUTE_PGM_RSRC2:TRAP_HANDLER: 0
; COMPUTE_PGM_RSRC2:TGID_X_EN: 1
; COMPUTE_PGM_RSRC2:TGID_Y_EN: 0
; COMPUTE_PGM_RSRC2:TGID_Z_EN: 0
; COMPUTE_PGM_RSRC2:TIDIG_COMP_CNT: 0
	.text
	.p2alignl 7, 3214868480
	.fill 96, 4, 3214868480
	.type	__hip_cuid_74c64c06f71408,@object ; @__hip_cuid_74c64c06f71408
	.section	.bss,"aw",@nobits
	.globl	__hip_cuid_74c64c06f71408
__hip_cuid_74c64c06f71408:
	.byte	0                               ; 0x0
	.size	__hip_cuid_74c64c06f71408, 1

	.ident	"AMD clang version 19.0.0git (https://github.com/RadeonOpenCompute/llvm-project roc-6.4.0 25133 c7fe45cf4b819c5991fe208aaa96edf142730f1d)"
	.section	".note.GNU-stack","",@progbits
	.addrsig
	.addrsig_sym __hip_cuid_74c64c06f71408
	.amdgpu_metadata
---
amdhsa.kernels:
  - .args:
      - .actual_access:  read_only
        .address_space:  global
        .offset:         0
        .size:           8
        .value_kind:     global_buffer
      - .offset:         8
        .size:           8
        .value_kind:     by_value
      - .actual_access:  read_only
        .address_space:  global
        .offset:         16
        .size:           8
        .value_kind:     global_buffer
      - .actual_access:  read_only
        .address_space:  global
        .offset:         24
        .size:           8
        .value_kind:     global_buffer
      - .actual_access:  read_only
        .address_space:  global
        .offset:         32
        .size:           8
        .value_kind:     global_buffer
      - .offset:         40
        .size:           8
        .value_kind:     by_value
      - .actual_access:  read_only
        .address_space:  global
        .offset:         48
        .size:           8
        .value_kind:     global_buffer
      - .actual_access:  read_only
        .address_space:  global
        .offset:         56
        .size:           8
        .value_kind:     global_buffer
      - .offset:         64
        .size:           4
        .value_kind:     by_value
      - .actual_access:  read_only
        .address_space:  global
        .offset:         72
        .size:           8
        .value_kind:     global_buffer
      - .actual_access:  read_only
        .address_space:  global
        .offset:         80
        .size:           8
        .value_kind:     global_buffer
      - .actual_access:  read_only
        .address_space:  global
        .offset:         88
        .size:           8
        .value_kind:     global_buffer
      - .actual_access:  write_only
        .address_space:  global
        .offset:         96
        .size:           8
        .value_kind:     global_buffer
    .group_segment_fixed_size: 0
    .kernarg_segment_align: 8
    .kernarg_segment_size: 104
    .language:       OpenCL C
    .language_version:
      - 2
      - 0
    .max_flat_workgroup_size: 216
    .name:           fft_rtc_back_len243_factors_3_3_3_3_3_wgs_216_tpt_27_sp_op_CI_CI_sbrc_xy_z_unaligned
    .private_segment_fixed_size: 0
    .sgpr_count:     34
    .sgpr_spill_count: 0
    .symbol:         fft_rtc_back_len243_factors_3_3_3_3_3_wgs_216_tpt_27_sp_op_CI_CI_sbrc_xy_z_unaligned.kd
    .uniform_work_group_size: 1
    .uses_dynamic_stack: false
    .vgpr_count:     55
    .vgpr_spill_count: 0
    .wavefront_size: 32
    .workgroup_processor_mode: 1
amdhsa.target:   amdgcn-amd-amdhsa--gfx1201
amdhsa.version:
  - 1
  - 2
...

	.end_amdgpu_metadata
